;; amdgpu-corpus repo=zjin-lcf/HeCBench kind=compiled arch=gfx906 opt=O3
	.amdgcn_target "amdgcn-amd-amdhsa--gfx906"
	.amdhsa_code_object_version 6
	.text
	.protected	_Z9calc_tempiPKfS0_Pfiiiifffff ; -- Begin function _Z9calc_tempiPKfS0_Pfiiiifffff
	.globl	_Z9calc_tempiPKfS0_Pfiiiifffff
	.p2align	8
	.type	_Z9calc_tempiPKfS0_Pfiiiifffff,@function
_Z9calc_tempiPKfS0_Pfiiiifffff:         ; @_Z9calc_tempiPKfS0_Pfiiiifffff
; %bb.0:
	s_load_dword s16, s[4:5], 0x0
	s_load_dwordx8 s[8:15], s[4:5], 0x20
	s_waitcnt lgkmcnt(0)
	s_lshl_b32 s0, s16, 1
	s_sub_i32 s0, 16, s0
	s_mul_i32 s1, s0, s7
	s_mul_i32 s0, s0, s6
	s_sub_i32 s17, s1, s11
	s_sub_i32 s18, s0, s10
	v_add_u32_e32 v5, s17, v1
	v_add_u32_e32 v4, s18, v0
	v_mad_u64_u32 v[2:3], s[0:1], v5, s8, v[4:5]
	v_cmp_lt_i32_e64 s[2:3], -1, v4
	v_cmp_gt_i32_e64 s[6:7], s8, v4
	v_cmp_gt_i32_e64 s[0:1], s9, v5
	s_and_b64 s[2:3], s[2:3], s[6:7]
	v_cmp_lt_i32_e32 vcc, -1, v5
	s_and_b64 s[0:1], s[0:1], s[2:3]
	s_and_b64 s[2:3], vcc, s[0:1]
	v_lshlrev_b32_e32 v4, 2, v0
	s_and_saveexec_b64 s[0:1], s[2:3]
	s_cbranch_execz .LBB0_2
; %bb.1:
	s_load_dwordx4 s[20:23], s[4:5], 0x8
	v_ashrrev_i32_e32 v3, 31, v2
	v_lshlrev_b64 v[5:6], 2, v[2:3]
	s_waitcnt lgkmcnt(0)
	v_mov_b32_e32 v3, s21
	v_add_co_u32_e32 v7, vcc, s20, v5
	v_addc_co_u32_e32 v8, vcc, v3, v6, vcc
	v_mov_b32_e32 v3, s23
	v_add_co_u32_e32 v5, vcc, s22, v5
	v_addc_co_u32_e32 v6, vcc, v3, v6, vcc
	global_load_dword v3, v[5:6], off
	global_load_dword v9, v[7:8], off
	v_lshl_add_u32 v5, v1, 6, v4
	s_waitcnt vmcnt(0)
	ds_write2st64_b32 v5, v3, v9 offset1:4
.LBB0_2:
	s_or_b64 exec, exec, s[0:1]
	s_load_dwordx2 s[10:11], s[4:5], 0x18
	s_cmp_lt_i32 s16, 1
	s_waitcnt lgkmcnt(0)
	s_barrier
	s_cbranch_scc1 .LBB0_13
; %bb.3:
	s_load_dword s2, s[4:5], 0x40
	v_div_scale_f32 v3, s[0:1], s13, s13, 1.0
	v_mov_b32_e32 v8, s12
	v_div_scale_f32 v12, s[4:5], s15, s15, 1.0
	s_waitcnt lgkmcnt(0)
	v_mov_b32_e32 v5, s2
	v_div_scale_f32 v6, s[0:1], s12, s12, v5
	v_div_scale_f32 v7, s[0:1], 1.0, s13, 1.0
	v_div_scale_f32 v8, vcc, s2, v8, s2
	v_div_scale_f32 v9, s[2:3], s14, s14, 1.0
	v_div_scale_f32 v11, s[2:3], 1.0, s14, 1.0
	v_rcp_f32_e32 v10, v3
	s_mov_b32 s19, 0
	v_fma_f32 v13, -v3, v10, 1.0
	v_fmac_f32_e32 v10, v13, v10
	v_rcp_f32_e32 v13, v6
	v_mul_f32_e32 v14, v7, v10
	v_fma_f32 v15, -v3, v14, v7
	v_fmac_f32_e32 v14, v15, v10
	v_fma_f32 v15, -v6, v13, 1.0
	v_fmac_f32_e32 v13, v15, v13
	v_mul_f32_e32 v15, v8, v13
	v_fma_f32 v16, -v6, v15, v8
	v_fmac_f32_e32 v15, v16, v13
	v_fma_f32 v6, -v6, v15, v8
	v_div_scale_f32 v8, s[4:5], 1.0, s15, 1.0
	v_div_fmas_f32 v6, v6, v13, v15
	v_rcp_f32_e32 v13, v9
	v_fma_f32 v3, -v3, v14, v7
	s_mov_b64 vcc, s[0:1]
	v_div_fmas_f32 v7, v3, v10, v14
	v_fma_f32 v3, -v9, v13, 1.0
	v_fmac_f32_e32 v13, v3, v13
	v_mul_f32_e32 v3, v11, v13
	v_fma_f32 v10, -v9, v3, v11
	v_fmac_f32_e32 v3, v10, v13
	v_rcp_f32_e32 v10, v12
	v_fma_f32 v9, -v9, v3, v11
	s_mov_b64 vcc, s[2:3]
	v_div_fmas_f32 v9, v9, v13, v3
	v_fma_f32 v3, -v12, v10, 1.0
	v_fmac_f32_e32 v10, v3, v10
	v_mul_f32_e32 v3, v8, v10
	v_fma_f32 v11, -v12, v3, v8
	v_fmac_f32_e32 v3, v11, v10
	v_fma_f32 v8, -v12, v3, v8
	s_mov_b64 vcc, s[4:5]
	v_div_fmas_f32 v8, v8, v10, v3
	s_not_b32 s2, s18
	s_add_i32 s0, s17, 15
	s_add_i32 s1, s18, 15
	;; [unrolled: 1-line block ×3, first 2 shown]
	s_cmp_ge_i32 s1, s8
	s_cselect_b32 s2, s2, 15
	s_sub_i32 s1, 0, s18
	s_ashr_i32 s3, s18, 31
	s_and_b32 s1, s3, s1
	s_not_b32 s3, s17
	v_div_fixup_f32 v3, v6, s12, v5
	v_div_fixup_f32 v5, v7, s13, 1.0
	s_add_i32 s3, s9, s3
	s_cmp_ge_i32 s0, s9
	s_cselect_b32 s6, s3, 15
	v_div_fixup_f32 v7, v8, s15, 1.0
	v_add_u32_e32 v8, 1, v0
	v_min_i32_e32 v12, s2, v8
	v_add_u32_e32 v8, -1, v0
	v_max_i32_e32 v13, s1, v8
	v_add_u32_e32 v8, 1, v1
	s_sub_i32 s0, 0, s17
	s_ashr_i32 s3, s17, 31
	v_min_i32_e32 v10, s6, v8
	v_add_u32_e32 v8, -1, v1
	s_and_b32 s4, s3, s0
	v_lshlrev_b32_e32 v14, 6, v1
	v_max_i32_e32 v11, s4, v8
	v_add_u32_e32 v8, v14, v4
	v_div_fixup_f32 v6, v9, s14, 1.0
	v_cmp_gt_i32_e64 s[0:1], s1, v0
	v_cmp_lt_i32_e64 s[2:3], s2, v0
	v_cmp_gt_i32_e64 s[4:5], s4, v1
	v_cmp_lt_i32_e64 s[6:7], s6, v1
	v_add_u32_e32 v9, 0x400, v8
	v_lshl_add_u32 v10, v10, 6, v4
	v_lshl_add_u32 v11, v11, 6, v4
	;; [unrolled: 1-line block ×4, first 2 shown]
	v_add_u32_e32 v14, 0x800, v8
	s_add_i32 s18, s16, -1
	v_max_i32_e32 v15, v0, v1
                                        ; implicit-def: $sgpr12_sgpr13
	s_branch .LBB0_6
.LBB0_4:                                ;   in Loop: Header=BB0_6 Depth=1
	s_or_b64 exec, exec, s[8:9]
	s_add_i32 s19, s19, 1
	s_mov_b64 s[8:9], 0
	s_waitcnt lgkmcnt(0)
	s_barrier
.LBB0_5:                                ;   in Loop: Header=BB0_6 Depth=1
	s_and_b64 vcc, exec, s[8:9]
	s_cbranch_vccnz .LBB0_14
.LBB0_6:                                ; =>This Inner Loop Header: Depth=1
	v_cmp_lt_u32_e32 vcc, s19, v0
	s_andn2_b64 s[12:13], s[12:13], exec
	s_and_saveexec_b64 s[14:15], vcc
	s_cbranch_execz .LBB0_10
; %bb.7:                                ;   in Loop: Header=BB0_6 Depth=1
	s_sub_i32 s8, 14, s19
	v_cmp_ge_u32_e32 vcc, s19, v1
	v_cmp_lt_i32_e64 s[8:9], s8, v15
	s_or_b64 s[8:9], s[8:9], vcc
	s_or_b64 s[8:9], s[8:9], s[0:1]
	s_or_b64 s[8:9], s[8:9], s[2:3]
	;; [unrolled: 1-line block ×3, first 2 shown]
	s_nor_b64 s[20:21], s[8:9], s[6:7]
	s_mov_b64 s[8:9], 0
	s_and_saveexec_b64 s[16:17], s[20:21]
	s_cbranch_execz .LBB0_9
; %bb.8:                                ;   in Loop: Header=BB0_6 Depth=1
	ds_read_b32 v16, v8
	ds_read_b32 v17, v10
	;; [unrolled: 1-line block ×6, first 2 shown]
	s_mov_b64 s[8:9], exec
	s_waitcnt lgkmcnt(3)
	v_add_f32_e32 v17, v17, v18
	v_fmac_f32_e32 v17, -2.0, v16
	s_waitcnt lgkmcnt(2)
	v_fmac_f32_e32 v19, v6, v17
	s_waitcnt lgkmcnt(0)
	v_add_f32_e32 v17, v20, v21
	v_fmac_f32_e32 v17, -2.0, v16
	v_fmac_f32_e32 v19, v5, v17
	v_sub_f32_e32 v17, 0x42a00000, v16
	v_fmac_f32_e32 v19, v7, v17
	v_fmac_f32_e32 v16, v3, v19
	ds_write_b32 v14, v16
.LBB0_9:                                ;   in Loop: Header=BB0_6 Depth=1
	s_or_b64 exec, exec, s[16:17]
	s_andn2_b64 s[12:13], s[12:13], exec
	s_and_b64 s[8:9], s[8:9], exec
	s_or_b64 s[12:13], s[12:13], s[8:9]
.LBB0_10:                               ;   in Loop: Header=BB0_6 Depth=1
	s_or_b64 exec, exec, s[14:15]
	s_cmp_eq_u32 s19, s18
	s_mov_b64 s[8:9], -1
	s_waitcnt lgkmcnt(0)
	s_barrier
	s_cbranch_scc1 .LBB0_5
; %bb.11:                               ;   in Loop: Header=BB0_6 Depth=1
	s_and_saveexec_b64 s[8:9], s[12:13]
	s_cbranch_execz .LBB0_4
; %bb.12:                               ;   in Loop: Header=BB0_6 Depth=1
	ds_read_b32 v16, v14
	s_waitcnt lgkmcnt(0)
	ds_write_b32 v8, v16
	s_branch .LBB0_4
.LBB0_13:
                                        ; implicit-def: $sgpr12_sgpr13
.LBB0_14:
	s_and_saveexec_b64 s[0:1], s[12:13]
	s_cbranch_execz .LBB0_16
; %bb.15:
	v_lshl_add_u32 v0, v1, 6, v4
	v_ashrrev_i32_e32 v3, 31, v2
	ds_read_b32 v4, v0 offset:2048
	v_lshlrev_b64 v[2:3], 2, v[2:3]
	v_mov_b32_e32 v5, s11
	v_add_co_u32_e32 v0, vcc, s10, v2
	v_addc_co_u32_e32 v1, vcc, v5, v3, vcc
	s_waitcnt lgkmcnt(0)
	global_store_dword v[0:1], v4, off
.LBB0_16:
	s_endpgm
	.section	.rodata,"a",@progbits
	.p2align	6, 0x0
	.amdhsa_kernel _Z9calc_tempiPKfS0_Pfiiiifffff
		.amdhsa_group_segment_fixed_size 3072
		.amdhsa_private_segment_fixed_size 0
		.amdhsa_kernarg_size 68
		.amdhsa_user_sgpr_count 6
		.amdhsa_user_sgpr_private_segment_buffer 1
		.amdhsa_user_sgpr_dispatch_ptr 0
		.amdhsa_user_sgpr_queue_ptr 0
		.amdhsa_user_sgpr_kernarg_segment_ptr 1
		.amdhsa_user_sgpr_dispatch_id 0
		.amdhsa_user_sgpr_flat_scratch_init 0
		.amdhsa_user_sgpr_private_segment_size 0
		.amdhsa_uses_dynamic_stack 0
		.amdhsa_system_sgpr_private_segment_wavefront_offset 0
		.amdhsa_system_sgpr_workgroup_id_x 1
		.amdhsa_system_sgpr_workgroup_id_y 1
		.amdhsa_system_sgpr_workgroup_id_z 0
		.amdhsa_system_sgpr_workgroup_info 0
		.amdhsa_system_vgpr_workitem_id 1
		.amdhsa_next_free_vgpr 29
		.amdhsa_next_free_sgpr 61
		.amdhsa_reserve_vcc 1
		.amdhsa_reserve_flat_scratch 0
		.amdhsa_float_round_mode_32 0
		.amdhsa_float_round_mode_16_64 0
		.amdhsa_float_denorm_mode_32 3
		.amdhsa_float_denorm_mode_16_64 3
		.amdhsa_dx10_clamp 1
		.amdhsa_ieee_mode 1
		.amdhsa_fp16_overflow 0
		.amdhsa_exception_fp_ieee_invalid_op 0
		.amdhsa_exception_fp_denorm_src 0
		.amdhsa_exception_fp_ieee_div_zero 0
		.amdhsa_exception_fp_ieee_overflow 0
		.amdhsa_exception_fp_ieee_underflow 0
		.amdhsa_exception_fp_ieee_inexact 0
		.amdhsa_exception_int_div_zero 0
	.end_amdhsa_kernel
	.text
.Lfunc_end0:
	.size	_Z9calc_tempiPKfS0_Pfiiiifffff, .Lfunc_end0-_Z9calc_tempiPKfS0_Pfiiiifffff
                                        ; -- End function
	.set _Z9calc_tempiPKfS0_Pfiiiifffff.num_vgpr, 22
	.set _Z9calc_tempiPKfS0_Pfiiiifffff.num_agpr, 0
	.set _Z9calc_tempiPKfS0_Pfiiiifffff.numbered_sgpr, 24
	.set _Z9calc_tempiPKfS0_Pfiiiifffff.num_named_barrier, 0
	.set _Z9calc_tempiPKfS0_Pfiiiifffff.private_seg_size, 0
	.set _Z9calc_tempiPKfS0_Pfiiiifffff.uses_vcc, 1
	.set _Z9calc_tempiPKfS0_Pfiiiifffff.uses_flat_scratch, 0
	.set _Z9calc_tempiPKfS0_Pfiiiifffff.has_dyn_sized_stack, 0
	.set _Z9calc_tempiPKfS0_Pfiiiifffff.has_recursion, 0
	.set _Z9calc_tempiPKfS0_Pfiiiifffff.has_indirect_call, 0
	.section	.AMDGPU.csdata,"",@progbits
; Kernel info:
; codeLenInByte = 1084
; TotalNumSgprs: 28
; NumVgprs: 22
; ScratchSize: 0
; MemoryBound: 0
; FloatMode: 240
; IeeeMode: 1
; LDSByteSize: 3072 bytes/workgroup (compile time only)
; SGPRBlocks: 8
; VGPRBlocks: 7
; NumSGPRsForWavesPerEU: 65
; NumVGPRsForWavesPerEU: 29
; Occupancy: 8
; WaveLimiterHint : 0
; COMPUTE_PGM_RSRC2:SCRATCH_EN: 0
; COMPUTE_PGM_RSRC2:USER_SGPR: 6
; COMPUTE_PGM_RSRC2:TRAP_HANDLER: 0
; COMPUTE_PGM_RSRC2:TGID_X_EN: 1
; COMPUTE_PGM_RSRC2:TGID_Y_EN: 1
; COMPUTE_PGM_RSRC2:TGID_Z_EN: 0
; COMPUTE_PGM_RSRC2:TIDIG_COMP_CNT: 1
	.section	.AMDGPU.gpr_maximums,"",@progbits
	.set amdgpu.max_num_vgpr, 0
	.set amdgpu.max_num_agpr, 0
	.set amdgpu.max_num_sgpr, 0
	.section	.AMDGPU.csdata,"",@progbits
	.type	__hip_cuid_f5020d04ab99ac4c,@object ; @__hip_cuid_f5020d04ab99ac4c
	.section	.bss,"aw",@nobits
	.globl	__hip_cuid_f5020d04ab99ac4c
__hip_cuid_f5020d04ab99ac4c:
	.byte	0                               ; 0x0
	.size	__hip_cuid_f5020d04ab99ac4c, 1

	.ident	"AMD clang version 22.0.0git (https://github.com/RadeonOpenCompute/llvm-project roc-7.2.4 26084 f58b06dce1f9c15707c5f808fd002e18c2accf7e)"
	.section	".note.GNU-stack","",@progbits
	.addrsig
	.addrsig_sym __hip_cuid_f5020d04ab99ac4c
	.amdgpu_metadata
---
amdhsa.kernels:
  - .args:
      - .offset:         0
        .size:           4
        .value_kind:     by_value
      - .actual_access:  read_only
        .address_space:  global
        .offset:         8
        .size:           8
        .value_kind:     global_buffer
      - .actual_access:  read_only
        .address_space:  global
        .offset:         16
        .size:           8
        .value_kind:     global_buffer
      - .actual_access:  write_only
        .address_space:  global
        .offset:         24
        .size:           8
        .value_kind:     global_buffer
      - .offset:         32
        .size:           4
        .value_kind:     by_value
      - .offset:         36
        .size:           4
        .value_kind:     by_value
      - .offset:         40
        .size:           4
        .value_kind:     by_value
      - .offset:         44
        .size:           4
        .value_kind:     by_value
      - .offset:         48
        .size:           4
        .value_kind:     by_value
      - .offset:         52
        .size:           4
        .value_kind:     by_value
      - .offset:         56
        .size:           4
        .value_kind:     by_value
      - .offset:         60
        .size:           4
        .value_kind:     by_value
      - .offset:         64
        .size:           4
        .value_kind:     by_value
    .group_segment_fixed_size: 3072
    .kernarg_segment_align: 8
    .kernarg_segment_size: 68
    .language:       OpenCL C
    .language_version:
      - 2
      - 0
    .max_flat_workgroup_size: 1024
    .name:           _Z9calc_tempiPKfS0_Pfiiiifffff
    .private_segment_fixed_size: 0
    .sgpr_count:     28
    .sgpr_spill_count: 0
    .symbol:         _Z9calc_tempiPKfS0_Pfiiiifffff.kd
    .uniform_work_group_size: 1
    .uses_dynamic_stack: false
    .vgpr_count:     22
    .vgpr_spill_count: 0
    .wavefront_size: 64
amdhsa.target:   amdgcn-amd-amdhsa--gfx906
amdhsa.version:
  - 1
  - 2
...

	.end_amdgpu_metadata
